;; amdgpu-corpus repo=LLNL/RAJAPerf kind=compiled arch=gfx90a opt=O3
	.text
	.amdgcn_target "amdgcn-amd-amdhsa--gfx90a"
	.amdhsa_code_object_version 6
	.section	.text._ZN8rajaperf5basic16indexlist_customILm256ELm15EEEvPdPiPlS4_PjS4_l,"axG",@progbits,_ZN8rajaperf5basic16indexlist_customILm256ELm15EEEvPdPiPlS4_PjS4_l,comdat
	.protected	_ZN8rajaperf5basic16indexlist_customILm256ELm15EEEvPdPiPlS4_PjS4_l ; -- Begin function _ZN8rajaperf5basic16indexlist_customILm256ELm15EEEvPdPiPlS4_PjS4_l
	.globl	_ZN8rajaperf5basic16indexlist_customILm256ELm15EEEvPdPiPlS4_PjS4_l
	.p2align	8
	.type	_ZN8rajaperf5basic16indexlist_customILm256ELm15EEEvPdPiPlS4_PjS4_l,@function
_ZN8rajaperf5basic16indexlist_customILm256ELm15EEEvPdPiPlS4_PjS4_l: ; @_ZN8rajaperf5basic16indexlist_customILm256ELm15EEEvPdPiPlS4_PjS4_l
; %bb.0:
	s_load_dwordx8 s[40:47], s[4:5], 0x0
	s_load_dwordx4 s[48:51], s[4:5], 0x30
	s_mul_hi_i32 s0, s6, 0xf00
	s_mul_i32 s1, s6, 0xf00
	v_or_b32_e32 v58, s1, v0
	v_mov_b32_e32 v59, s0
	v_pk_mov_b32 v[2:3], 0, 0
	s_waitcnt lgkmcnt(0)
	v_cmp_gt_i64_e64 s[0:1], s[48:49], v[58:59]
	v_pk_mov_b32 v[4:5], v[2:3], v[2:3] op_sel:[0,1]
	s_and_saveexec_b64 s[2:3], s[0:1]
	s_cbranch_execz .LBB0_4
; %bb.1:
	v_lshlrev_b64 v[4:5], 3, v[58:59]
	v_mov_b32_e32 v1, s41
	v_add_co_u32_e32 v4, vcc, s40, v4
	v_addc_co_u32_e32 v5, vcc, v1, v5, vcc
	global_load_dwordx2 v[4:5], v[4:5], off
	s_waitcnt vmcnt(0)
	v_cmp_gt_f64_e32 vcc, 0, v[4:5]
	v_pk_mov_b32 v[4:5], 0, 0
	s_and_saveexec_b64 s[8:9], vcc
; %bb.2:
	v_mov_b32_e32 v4, 1
	v_mov_b32_e32 v5, 0
; %bb.3:
	s_or_b64 exec, exec, s[8:9]
.LBB0_4:
	s_or_b64 exec, exec, s[2:3]
	v_add_co_u32_e32 v60, vcc, 0x100, v58
	v_addc_co_u32_e32 v61, vcc, 0, v59, vcc
	v_cmp_gt_i64_e64 s[2:3], s[48:49], v[60:61]
	s_and_saveexec_b64 s[8:9], s[2:3]
	s_cbranch_execz .LBB0_8
; %bb.5:
	v_lshlrev_b64 v[2:3], 3, v[58:59]
	v_mov_b32_e32 v1, s41
	v_add_co_u32_e32 v2, vcc, s40, v2
	v_addc_co_u32_e32 v3, vcc, v1, v3, vcc
	global_load_dwordx2 v[2:3], v[2:3], off offset:2048
	s_waitcnt vmcnt(0)
	v_cmp_gt_f64_e32 vcc, 0, v[2:3]
	v_pk_mov_b32 v[2:3], 0, 0
	s_and_saveexec_b64 s[10:11], vcc
; %bb.6:
	v_mov_b32_e32 v2, 1
	v_mov_b32_e32 v3, 0
; %bb.7:
	s_or_b64 exec, exec, s[10:11]
.LBB0_8:
	s_or_b64 exec, exec, s[8:9]
	v_add_co_u32_e32 v62, vcc, 0x200, v58
	v_addc_co_u32_e32 v63, vcc, 0, v59, vcc
	v_pk_mov_b32 v[6:7], 0, 0
	v_cmp_gt_i64_e64 s[34:35], s[48:49], v[62:63]
	v_pk_mov_b32 v[8:9], v[6:7], v[6:7] op_sel:[0,1]
	s_and_saveexec_b64 s[8:9], s[34:35]
	s_cbranch_execz .LBB0_12
; %bb.9:
	v_lshlrev_b64 v[8:9], 3, v[62:63]
	v_mov_b32_e32 v1, s41
	v_add_co_u32_e32 v8, vcc, s40, v8
	v_addc_co_u32_e32 v9, vcc, v1, v9, vcc
	global_load_dwordx2 v[8:9], v[8:9], off
	s_waitcnt vmcnt(0)
	v_cmp_gt_f64_e32 vcc, 0, v[8:9]
	v_pk_mov_b32 v[8:9], 0, 0
	s_and_saveexec_b64 s[10:11], vcc
; %bb.10:
	v_mov_b32_e32 v8, 1
	v_mov_b32_e32 v9, 0
; %bb.11:
	s_or_b64 exec, exec, s[10:11]
.LBB0_12:
	s_or_b64 exec, exec, s[8:9]
	v_add_co_u32_e32 v64, vcc, 0x300, v58
	v_addc_co_u32_e32 v65, vcc, 0, v59, vcc
	v_cmp_gt_i64_e64 s[30:31], s[48:49], v[64:65]
	s_and_saveexec_b64 s[8:9], s[30:31]
	s_cbranch_execz .LBB0_16
; %bb.13:
	v_lshlrev_b64 v[6:7], 3, v[64:65]
	v_mov_b32_e32 v1, s41
	v_add_co_u32_e32 v6, vcc, s40, v6
	v_addc_co_u32_e32 v7, vcc, v1, v7, vcc
	global_load_dwordx2 v[6:7], v[6:7], off
	s_waitcnt vmcnt(0)
	v_cmp_gt_f64_e32 vcc, 0, v[6:7]
	v_pk_mov_b32 v[6:7], 0, 0
	s_and_saveexec_b64 s[10:11], vcc
; %bb.14:
	v_mov_b32_e32 v6, 1
	v_mov_b32_e32 v7, 0
; %bb.15:
	s_or_b64 exec, exec, s[10:11]
.LBB0_16:
	s_or_b64 exec, exec, s[8:9]
	v_add_co_u32_e32 v66, vcc, 0x400, v58
	v_addc_co_u32_e32 v67, vcc, 0, v59, vcc
	v_pk_mov_b32 v[10:11], 0, 0
	v_cmp_gt_i64_e64 s[8:9], s[48:49], v[66:67]
	v_pk_mov_b32 v[12:13], v[10:11], v[10:11] op_sel:[0,1]
	s_and_saveexec_b64 s[10:11], s[8:9]
	s_cbranch_execz .LBB0_20
; %bb.17:
	v_lshlrev_b64 v[12:13], 3, v[66:67]
	v_mov_b32_e32 v1, s41
	v_add_co_u32_e32 v12, vcc, s40, v12
	v_addc_co_u32_e32 v13, vcc, v1, v13, vcc
	global_load_dwordx2 v[12:13], v[12:13], off
	s_waitcnt vmcnt(0)
	v_cmp_gt_f64_e32 vcc, 0, v[12:13]
	v_pk_mov_b32 v[12:13], 0, 0
	s_and_saveexec_b64 s[12:13], vcc
; %bb.18:
	v_mov_b32_e32 v12, 1
	v_mov_b32_e32 v13, 0
; %bb.19:
	s_or_b64 exec, exec, s[12:13]
.LBB0_20:
	s_or_b64 exec, exec, s[10:11]
	v_add_co_u32_e32 v68, vcc, 0x500, v58
	v_addc_co_u32_e32 v69, vcc, 0, v59, vcc
	v_cmp_gt_i64_e64 s[10:11], s[48:49], v[68:69]
	s_and_saveexec_b64 s[12:13], s[10:11]
	s_cbranch_execz .LBB0_24
; %bb.21:
	v_lshlrev_b64 v[10:11], 3, v[68:69]
	v_mov_b32_e32 v1, s41
	v_add_co_u32_e32 v10, vcc, s40, v10
	v_addc_co_u32_e32 v11, vcc, v1, v11, vcc
	global_load_dwordx2 v[10:11], v[10:11], off
	s_waitcnt vmcnt(0)
	v_cmp_gt_f64_e32 vcc, 0, v[10:11]
	v_pk_mov_b32 v[10:11], 0, 0
	s_and_saveexec_b64 s[14:15], vcc
; %bb.22:
	v_mov_b32_e32 v10, 1
	v_mov_b32_e32 v11, 0
; %bb.23:
	s_or_b64 exec, exec, s[14:15]
.LBB0_24:
	;; [unrolled: 46-line block ×6, first 2 shown]
	s_or_b64 exec, exec, s[28:29]
	v_add_co_u32_e32 v86, vcc, 0xe00, v58
	v_addc_co_u32_e32 v87, vcc, 0, v59, vcc
	v_cmp_gt_i64_e64 s[28:29], s[48:49], v[86:87]
	v_pk_mov_b32 v[30:31], 0, 0
	s_and_saveexec_b64 s[36:37], s[28:29]
	s_cbranch_execz .LBB0_60
; %bb.57:
	v_lshlrev_b64 v[30:31], 3, v[86:87]
	v_mov_b32_e32 v1, s41
	v_add_co_u32_e32 v30, vcc, s40, v30
	v_addc_co_u32_e32 v31, vcc, v1, v31, vcc
	global_load_dwordx2 v[30:31], v[30:31], off
	s_waitcnt vmcnt(0)
	v_cmp_gt_f64_e32 vcc, 0, v[30:31]
	v_pk_mov_b32 v[30:31], 0, 0
	s_and_saveexec_b64 s[38:39], vcc
; %bb.58:
	v_mov_b32_e32 v30, 1
	v_mov_b32_e32 v31, 0
; %bb.59:
	s_or_b64 exec, exec, s[38:39]
.LBB0_60:
	s_or_b64 exec, exec, s[36:37]
	v_lshlrev_b32_e32 v36, 3, v0
	s_movk_i32 s7, 0x70
	v_mad_u32_u24 v1, v0, s7, v36
	s_load_dword s33, s[4:5], 0x38
	ds_write2st64_b64 v36, v[4:5], v[2:3] offset1:4
	ds_write2st64_b64 v36, v[8:9], v[6:7] offset0:8 offset1:12
	ds_write2st64_b64 v36, v[12:13], v[10:11] offset0:16 offset1:20
	;; [unrolled: 1-line block ×6, first 2 shown]
	ds_write_b64 v36, v[30:31] offset:28672
	s_waitcnt lgkmcnt(0)
	s_barrier
	ds_read2_b64 v[2:5], v1 offset1:1
	ds_read2_b64 v[6:9], v1 offset0:2 offset1:3
	ds_read2_b64 v[10:13], v1 offset0:4 offset1:5
	;; [unrolled: 1-line block ×6, first 2 shown]
	ds_read_b64 v[30:31], v1 offset:112
	s_waitcnt lgkmcnt(7)
	v_add_co_u32_e32 v1, vcc, v4, v2
	v_addc_co_u32_e32 v32, vcc, v5, v3, vcc
	s_waitcnt lgkmcnt(6)
	v_add_co_u32_e32 v1, vcc, v1, v6
	v_addc_co_u32_e32 v32, vcc, v32, v7, vcc
	v_add_co_u32_e32 v1, vcc, v1, v8
	v_addc_co_u32_e32 v32, vcc, v32, v9, vcc
	s_waitcnt lgkmcnt(5)
	v_add_co_u32_e32 v1, vcc, v1, v10
	v_addc_co_u32_e32 v32, vcc, v32, v11, vcc
	;; [unrolled: 5-line block ×7, first 2 shown]
	s_nop 0
	v_mov_b32_dpp v34, v32 row_shr:1 row_mask:0xf bank_mask:0xf
	v_add_co_u32_e32 v34, vcc, v32, v34
	v_mbcnt_lo_u32_b32 v1, -1, 0
	v_addc_co_u32_e32 v37, vcc, 0, v33, vcc
	v_mbcnt_hi_u32_b32 v96, -1, v1
	v_mov_b32_dpp v35, v33 row_shr:1 row_mask:0xf bank_mask:0xf
	v_add_co_u32_e32 v38, vcc, 0, v34
	v_and_b32_e32 v1, 15, v96
	v_addc_co_u32_e32 v35, vcc, v35, v37, vcc
	v_cmp_eq_u32_e32 vcc, 0, v1
	v_cndmask_b32_e32 v34, v34, v32, vcc
	v_cndmask_b32_e32 v35, v35, v33, vcc
	v_cndmask_b32_e32 v37, v38, v32, vcc
	v_mov_b32_dpp v38, v34 row_shr:2 row_mask:0xf bank_mask:0xf
	v_mov_b32_dpp v39, v35 row_shr:2 row_mask:0xf bank_mask:0xf
	v_add_co_u32_e32 v38, vcc, v38, v37
	v_addc_co_u32_e32 v39, vcc, v39, v35, vcc
	v_cmp_lt_u32_e32 vcc, 1, v1
	v_cndmask_b32_e32 v34, v34, v38, vcc
	v_cndmask_b32_e32 v35, v35, v39, vcc
	v_cndmask_b32_e32 v37, v37, v38, vcc
	v_mov_b32_dpp v38, v34 row_shr:4 row_mask:0xf bank_mask:0xf
	v_mov_b32_dpp v39, v35 row_shr:4 row_mask:0xf bank_mask:0xf
	v_add_co_u32_e32 v38, vcc, v38, v37
	v_addc_co_u32_e32 v39, vcc, v39, v35, vcc
	v_cmp_lt_u32_e32 vcc, 3, v1
	;; [unrolled: 8-line block ×3, first 2 shown]
	v_cndmask_b32_e32 v40, v34, v38, vcc
	v_cndmask_b32_e32 v1, v35, v39, vcc
	;; [unrolled: 1-line block ×3, first 2 shown]
	v_mov_b32_dpp v35, v40 row_bcast:15 row_mask:0xf bank_mask:0xf
	v_mov_b32_dpp v37, v1 row_bcast:15 row_mask:0xf bank_mask:0xf
	v_and_b32_e32 v39, 16, v96
	v_add_co_u32_e32 v35, vcc, v35, v34
	v_addc_co_u32_e32 v38, vcc, v37, v1, vcc
	v_cmp_eq_u32_e64 s[36:37], 0, v39
	v_cndmask_b32_e64 v39, v38, v1, s[36:37]
	v_cndmask_b32_e64 v37, v35, v40, s[36:37]
	v_cmp_eq_u32_e32 vcc, 0, v96
	v_mov_b32_dpp v39, v39 row_bcast:31 row_mask:0xf bank_mask:0xf
	v_mov_b32_dpp v37, v37 row_bcast:31 row_mask:0xf bank_mask:0xf
	v_cmp_ne_u32_e64 s[38:39], 0, v96
	s_barrier
	s_and_saveexec_b64 s[40:41], s[38:39]
	s_xor_b64 s[38:39], exec, s[40:41]
; %bb.61:
	v_cndmask_b32_e64 v1, v38, v1, s[36:37]
	v_cndmask_b32_e64 v32, v35, v34, s[36:37]
	v_cmp_lt_u32_e64 s[36:37], 31, v96
	v_cndmask_b32_e64 v34, 0, v37, s[36:37]
	v_cndmask_b32_e64 v33, 0, v39, s[36:37]
	v_add_co_u32_e64 v32, s[36:37], v34, v32
	v_addc_co_u32_e64 v33, s[36:37], v33, v1, s[36:37]
; %bb.62:
	s_or_b64 exec, exec, s[38:39]
	s_load_dwordx4 s[52:55], s[4:5], 0x20
	v_or_b32_e32 v34, 63, v0
	s_ashr_i32 s7, s6, 31
	v_lshrrev_b32_e32 v1, 6, v0
	v_cmp_eq_u32_e64 s[4:5], v34, v0
	s_and_saveexec_b64 s[36:37], s[4:5]
	s_cbranch_execz .LBB0_64
; %bb.63:
	v_lshlrev_b32_e32 v34, 3, v1
	ds_write_b64 v34, v[32:33]
.LBB0_64:
	s_or_b64 exec, exec, s[36:37]
	v_cmp_gt_u32_e64 s[4:5], 4, v0
	s_waitcnt lgkmcnt(0)
	s_barrier
	s_and_saveexec_b64 s[36:37], s[4:5]
	s_cbranch_execz .LBB0_66
; %bb.65:
	ds_read_b64 v[34:35], v36
	v_and_b32_e32 v37, 3, v96
	s_waitcnt lgkmcnt(0)
	v_mov_b32_dpp v38, v34 row_shr:1 row_mask:0xf bank_mask:0xf
	v_add_co_u32_e64 v38, s[4:5], v34, v38
	v_addc_co_u32_e64 v40, s[4:5], 0, v35, s[4:5]
	v_mov_b32_dpp v39, v35 row_shr:1 row_mask:0xf bank_mask:0xf
	v_add_co_u32_e64 v41, s[4:5], 0, v38
	v_addc_co_u32_e64 v39, s[4:5], v39, v40, s[4:5]
	v_cmp_eq_u32_e64 s[4:5], 0, v37
	v_cndmask_b32_e64 v35, v39, v35, s[4:5]
	v_cndmask_b32_e64 v39, v41, v34, s[4:5]
	;; [unrolled: 1-line block ×3, first 2 shown]
	v_cmp_lt_u32_e64 s[4:5], 1, v37
	v_mov_b32_dpp v38, v35 row_shr:2 row_mask:0xf bank_mask:0xf
	v_mov_b32_dpp v34, v34 row_shr:2 row_mask:0xf bank_mask:0xf
	v_cndmask_b32_e64 v34, 0, v34, s[4:5]
	v_cndmask_b32_e64 v37, 0, v38, s[4:5]
	v_add_co_u32_e64 v34, s[4:5], v34, v39
	v_addc_co_u32_e64 v35, s[4:5], v37, v35, s[4:5]
	ds_write_b64 v36, v[34:35]
.LBB0_66:
	s_or_b64 exec, exec, s[36:37]
	v_cmp_lt_u32_e64 s[4:5], 63, v0
	v_pk_mov_b32 v[34:35], 0, 0
	s_waitcnt lgkmcnt(0)
	s_barrier
	s_and_saveexec_b64 s[36:37], s[4:5]
	s_cbranch_execz .LBB0_68
; %bb.67:
	v_lshl_add_u32 v1, v1, 3, -8
	ds_read_b64 v[34:35], v1
.LBB0_68:
	s_or_b64 exec, exec, s[36:37]
	s_waitcnt lgkmcnt(0)
	v_add_co_u32_e64 v1, s[4:5], v34, v32
	v_addc_co_u32_e64 v32, s[4:5], v35, v33, s[4:5]
	v_add_u32_e32 v33, -1, v96
	v_and_b32_e32 v37, 64, v96
	v_cmp_lt_i32_e64 s[4:5], v33, v37
	v_cndmask_b32_e64 v33, v33, v96, s[4:5]
	v_lshlrev_b32_e32 v33, 2, v33
	ds_bpermute_b32 v1, v33, v1
	ds_bpermute_b32 v32, v33, v32
	s_add_i32 s33, s33, -1
	s_cmp_lg_u32 s33, s6
	s_movk_i32 s33, 0x78
	s_waitcnt lgkmcnt(1)
	v_cndmask_b32_e32 v1, v1, v34, vcc
	s_waitcnt lgkmcnt(0)
	v_cndmask_b32_e32 v32, v32, v35, vcc
	v_cmp_ne_u32_e32 vcc, 0, v0
	v_cndmask_b32_e32 v33, 0, v32, vcc
	v_cndmask_b32_e32 v32, 0, v1, vcc
	v_add_co_u32_e32 v34, vcc, v32, v2
	v_addc_co_u32_e32 v35, vcc, v33, v3, vcc
	v_add_co_u32_e32 v38, vcc, v34, v4
	v_addc_co_u32_e32 v39, vcc, v35, v5, vcc
	v_add_co_u32_e32 v40, vcc, v38, v6
	v_addc_co_u32_e32 v41, vcc, v39, v7, vcc
	v_add_co_u32_e32 v42, vcc, v40, v8
	v_addc_co_u32_e32 v43, vcc, v41, v9, vcc
	v_add_co_u32_e32 v44, vcc, v42, v10
	v_addc_co_u32_e32 v45, vcc, v43, v11, vcc
	v_add_co_u32_e32 v46, vcc, v44, v12
	v_addc_co_u32_e32 v47, vcc, v45, v13, vcc
	v_add_co_u32_e32 v48, vcc, v46, v14
	v_addc_co_u32_e32 v49, vcc, v47, v15, vcc
	v_add_co_u32_e32 v50, vcc, v48, v16
	v_addc_co_u32_e32 v51, vcc, v49, v17, vcc
	v_add_co_u32_e32 v52, vcc, v50, v18
	v_addc_co_u32_e32 v53, vcc, v51, v19, vcc
	v_add_co_u32_e32 v54, vcc, v52, v20
	v_addc_co_u32_e32 v55, vcc, v53, v21, vcc
	v_add_co_u32_e32 v56, vcc, v54, v22
	v_addc_co_u32_e32 v57, vcc, v55, v23, vcc
	v_add_co_u32_e32 v88, vcc, v56, v24
	v_addc_co_u32_e32 v89, vcc, v57, v25, vcc
	v_add_co_u32_e32 v92, vcc, v88, v26
	v_addc_co_u32_e32 v93, vcc, v89, v27, vcc
	v_add_co_u32_e32 v94, vcc, v92, v28
	v_addc_co_u32_e32 v95, vcc, v93, v29, vcc
	v_add_co_u32_e32 v30, vcc, v94, v30
	v_mul_i32_i24_e32 v2, 0xffffff90, v0
	v_addc_co_u32_e32 v31, vcc, v95, v31, vcc
	v_mul_u32_u24_e32 v1, 0x78, v0
	v_mad_u32_u24 v97, v0, s33, v2
	s_barrier
	ds_write2_b64 v1, v[32:33], v[34:35] offset1:1
	ds_write2_b64 v1, v[38:39], v[40:41] offset0:2 offset1:3
	ds_write2_b64 v1, v[42:43], v[44:45] offset0:4 offset1:5
	;; [unrolled: 1-line block ×6, first 2 shown]
	ds_write_b64 v1, v[94:95] offset:112
	s_waitcnt lgkmcnt(0)
	s_barrier
	ds_read_b64 v[90:91], v36
	ds_read2st64_b64 v[2:5], v97 offset0:4 offset1:8
	ds_read2st64_b64 v[6:9], v97 offset0:12 offset1:16
	;; [unrolled: 1-line block ×7, first 2 shown]
	s_waitcnt lgkmcnt(0)
	s_barrier
	ds_write2_b64 v1, v[34:35], v[38:39] offset1:1
	ds_write2_b64 v1, v[40:41], v[42:43] offset0:2 offset1:3
	ds_write2_b64 v1, v[44:45], v[46:47] offset0:4 offset1:5
	;; [unrolled: 1-line block ×6, first 2 shown]
	ds_write_b64 v1, v[30:31] offset:112
	s_waitcnt lgkmcnt(0)
	s_barrier
	ds_read_b64 v[102:103], v36
	ds_read2st64_b64 v[30:33], v97 offset0:4 offset1:8
	ds_read2st64_b64 v[34:37], v97 offset0:12 offset1:16
	;; [unrolled: 1-line block ×7, first 2 shown]
	s_movk_i32 s4, 0xff
	s_cselect_b64 s[50:51], -1, 0
	v_cmp_eq_u32_e64 s[4:5], s4, v0
	s_and_b64 s[40:41], s[4:5], s[50:51]
	s_cmp_lg_u32 s6, 0
	s_waitcnt lgkmcnt(0)
	s_barrier
	s_cbranch_scc0 .LBB0_79
; %bb.69:
	s_and_saveexec_b64 s[36:37], s[40:41]
	s_cbranch_execz .LBB0_71
; %bb.70:
	s_lshl_b64 s[38:39], s[6:7], 3
	s_add_u32 s38, s44, s38
	s_addc_u32 s39, s45, s39
	s_lshl_b64 s[56:57], s[6:7], 2
	s_add_u32 s56, s52, s56
	v_mov_b32_e32 v1, 0
	s_addc_u32 s57, s53, s57
	v_mov_b32_e32 v88, 1
	global_store_dwordx2 v1, v[56:57], s[38:39]
	s_waitcnt vmcnt(0)
	buffer_wbinvl1_vol
	global_atomic_swap v1, v88, s[56:57]
.LBB0_71:
	s_or_b64 exec, exec, s[36:37]
	s_movk_i32 s33, 0xbf
	v_cmp_lt_u32_e32 vcc, s33, v0
	s_and_saveexec_b64 s[56:57], vcc
	s_cbranch_execz .LBB0_95
; %bb.72:
	s_sub_i32 s33, s6, 64
	v_and_b32_e32 v97, 63, v0
	v_mov_b32_e32 v89, 0
	s_mov_b64 s[36:37], 0
	s_cmp_lt_i32 s33, 0
	v_pk_mov_b32 v[0:1], 0, 0
	s_cbranch_scc1 .LBB0_81
; %bb.73:
	v_mov_b32_e32 v92, 11
	v_pk_mov_b32 v[0:1], 0, 0
	v_mov_b32_e32 v98, s53
	v_mov_b32_e32 v93, v92
	s_branch .LBB0_75
.LBB0_74:                               ;   in Loop: Header=BB0_75 Depth=1
	s_cmp_gt_i32 s33, -1
	s_cselect_b64 s[58:59], -1, 0
	s_and_b64 s[38:39], s[38:39], s[58:59]
	s_and_b64 vcc, exec, s[38:39]
	s_cbranch_vccz .LBB0_80
.LBB0_75:                               ; =>This Loop Header: Depth=1
                                        ;     Child Loop BB0_76 Depth 2
	v_add_u32_e32 v88, s33, v97
	v_lshlrev_b64 v[94:95], 2, v[88:89]
	v_add_co_u32_e32 v94, vcc, s52, v94
	v_addc_co_u32_e32 v95, vcc, v98, v95, vcc
.LBB0_76:                               ;   Parent Loop BB0_75 Depth=1
                                        ; =>  This Inner Loop Header: Depth=2
	global_atomic_cmpswap v99, v[94:95], v[92:93], off glc
	s_waitcnt vmcnt(0)
	v_cmp_ne_u32_e32 vcc, 0, v99
	s_cmp_lg_u64 vcc, -1
	s_cbranch_scc1 .LBB0_76
; %bb.77:                               ;   in Loop: Header=BB0_75 Depth=1
	v_cmp_eq_u32_e64 s[36:37], 2, v99
	s_cmp_eq_u64 s[36:37], 0
	s_cselect_b64 s[38:39], -1, 0
	s_mov_b64 vcc, s[36:37]
	s_cbranch_vccnz .LBB0_74
; %bb.78:                               ;   in Loop: Header=BB0_75 Depth=1
	v_lshlrev_b64 v[94:95], 3, v[88:89]
	v_mov_b32_e32 v88, s45
	v_add_co_u32_e32 v94, vcc, s44, v94
	v_addc_co_u32_e32 v95, vcc, v88, v95, vcc
	buffer_wbinvl1_vol
	global_load_dwordx2 v[94:95], v[94:95], off
	s_sub_i32 s33, s33, 64
	v_mov_b32_e32 v99, 0
	s_waitcnt vmcnt(0)
	v_add_co_u32_e32 v0, vcc, v94, v0
	v_addc_co_u32_e32 v1, vcc, v95, v1, vcc
	s_branch .LBB0_74
.LBB0_79:
                                        ; implicit-def: $vgpr88_vgpr89
                                        ; implicit-def: $vgpr94_vgpr95
                                        ; implicit-def: $vgpr98_vgpr99
                                        ; implicit-def: $vgpr104_vgpr105
                                        ; implicit-def: $vgpr108_vgpr109
                                        ; implicit-def: $vgpr112_vgpr113
                                        ; implicit-def: $vgpr116_vgpr117
                                        ; implicit-def: $vgpr120_vgpr121
                                        ; implicit-def: $vgpr124_vgpr125
                                        ; implicit-def: $vgpr128_vgpr129
                                        ; implicit-def: $vgpr132_vgpr133
                                        ; implicit-def: $vgpr136_vgpr137
                                        ; implicit-def: $vgpr140_vgpr141
                                        ; implicit-def: $vgpr144_vgpr145
                                        ; implicit-def: $vgpr148_vgpr149
                                        ; implicit-def: $vgpr0_vgpr1
                                        ; implicit-def: $vgpr92_vgpr93
                                        ; implicit-def: $vgpr96_vgpr97
                                        ; implicit-def: $vgpr100_vgpr101
                                        ; implicit-def: $vgpr106_vgpr107
                                        ; implicit-def: $vgpr110_vgpr111
                                        ; implicit-def: $vgpr114_vgpr115
                                        ; implicit-def: $vgpr118_vgpr119
                                        ; implicit-def: $vgpr122_vgpr123
                                        ; implicit-def: $vgpr126_vgpr127
                                        ; implicit-def: $vgpr130_vgpr131
                                        ; implicit-def: $vgpr134_vgpr135
                                        ; implicit-def: $vgpr138_vgpr139
                                        ; implicit-def: $vgpr142_vgpr143
                                        ; implicit-def: $vgpr146_vgpr147
	s_cbranch_execnz .LBB0_96
	s_branch .LBB0_99
.LBB0_80:
	s_mov_b64 s[38:39], 0
	v_mov_b32_e32 v89, v99
	s_branch .LBB0_82
.LBB0_81:
	s_mov_b64 s[38:39], -1
.LBB0_82:
	v_pk_mov_b32 v[94:95], s[38:39], s[38:39] op_sel:[0,1]
	v_cmp_gt_u64_e32 vcc, s[36:37], v[94:95]
	v_add_u32_e32 v92, s33, v97
	s_cbranch_vccnz .LBB0_87
; %bb.83:
	v_mov_b32_e32 v93, 0
	v_lshlrev_b64 v[94:95], 2, v[92:93]
	v_mov_b32_e32 v88, s53
	v_add_co_u32_e32 v94, vcc, s52, v94
	v_cmp_lt_i32_e64 s[38:39], -1, v92
	v_addc_co_u32_e32 v95, vcc, v88, v95, vcc
	v_mov_b32_e32 v88, 11
	s_branch .LBB0_85
.LBB0_84:                               ;   in Loop: Header=BB0_85 Depth=1
	s_or_b64 exec, exec, s[36:37]
	s_waitcnt vmcnt(0)
	v_cmp_ne_u32_e32 vcc, 0, v89
	s_not_b64 s[58:59], vcc
	v_cmp_eq_u32_e64 s[36:37], 2, v89
	v_pk_mov_b32 v[98:99], s[58:59], s[58:59] op_sel:[0,1]
	v_cmp_le_u64_e32 vcc, s[36:37], v[98:99]
	s_cbranch_vccz .LBB0_87
.LBB0_85:                               ; =>This Inner Loop Header: Depth=1
	s_and_saveexec_b64 s[36:37], s[38:39]
	s_cbranch_execz .LBB0_84
; %bb.86:                               ;   in Loop: Header=BB0_85 Depth=1
	v_mov_b32_e32 v89, v88
	global_atomic_cmpswap v89, v[94:95], v[88:89], off glc
	s_branch .LBB0_84
.LBB0_87:
	v_lshrrev_b64 v[88:89], v97, s[36:37]
	v_cmp_eq_u64_e64 s[38:39], 0, v[88:89]
	v_cmp_ne_u64_e32 vcc, 0, v[88:89]
	v_pk_mov_b32 v[88:89], s[44:45], s[44:45] op_sel:[0,1]
	s_waitcnt vmcnt(0)
	buffer_wbinvl1_vol
	s_and_saveexec_b64 s[58:59], vcc
; %bb.88:
	v_xor_b32_e32 v88, 63, v97
	v_lshrrev_b64 v[88:89], v88, -1
	v_cmp_le_u64_e32 vcc, s[36:37], v[88:89]
	s_andn2_b64 s[36:37], s[38:39], exec
	s_and_b64 s[38:39], vcc, exec
	v_pk_mov_b32 v[88:89], s[46:47], s[46:47] op_sel:[0,1]
	s_or_b64 s[38:39], s[36:37], s[38:39]
; %bb.89:
	s_or_b64 exec, exec, s[58:59]
	s_and_saveexec_b64 s[36:37], s[38:39]
	s_cbranch_execz .LBB0_91
; %bb.90:
	v_ashrrev_i32_e32 v93, 31, v92
	v_lshlrev_b64 v[92:93], 3, v[92:93]
	v_add_co_u32_e32 v88, vcc, v88, v92
	v_addc_co_u32_e32 v89, vcc, v89, v93, vcc
	global_load_dwordx2 v[88:89], v[88:89], off
	s_waitcnt vmcnt(0)
	v_add_co_u32_e32 v0, vcc, v88, v0
	v_addc_co_u32_e32 v1, vcc, v89, v1, vcc
.LBB0_91:
	s_or_b64 exec, exec, s[36:37]
	v_mov_b32_dpp v88, v0 quad_perm:[1,0,3,2] row_mask:0xf bank_mask:0xf
	v_add_co_u32_e32 v0, vcc, v0, v88
	v_mov_b32_dpp v89, v1 quad_perm:[1,0,3,2] row_mask:0xf bank_mask:0xf
	v_addc_co_u32_e32 v1, vcc, 0, v1, vcc
	v_add_co_u32_e32 v88, vcc, 0, v0
	v_addc_co_u32_e32 v1, vcc, v89, v1, vcc
	v_mov_b32_dpp v0, v0 quad_perm:[2,3,0,1] row_mask:0xf bank_mask:0xf
	v_add_co_u32_e32 v0, vcc, v88, v0
	v_mov_b32_dpp v89, v1 quad_perm:[2,3,0,1] row_mask:0xf bank_mask:0xf
	v_addc_co_u32_e32 v1, vcc, 0, v1, vcc
	v_add_co_u32_e32 v88, vcc, 0, v0
	v_addc_co_u32_e32 v1, vcc, v1, v89, vcc
	v_mov_b32_dpp v0, v0 row_ror:4 row_mask:0xf bank_mask:0xf
	v_add_co_u32_e32 v0, vcc, v88, v0
	v_mov_b32_dpp v89, v1 row_ror:4 row_mask:0xf bank_mask:0xf
	v_addc_co_u32_e32 v1, vcc, 0, v1, vcc
	v_add_co_u32_e32 v88, vcc, 0, v0
	v_addc_co_u32_e32 v1, vcc, v1, v89, vcc
	v_mov_b32_dpp v0, v0 row_ror:8 row_mask:0xf bank_mask:0xf
	v_add_co_u32_e32 v0, vcc, v88, v0
	v_mov_b32_dpp v89, v1 row_ror:8 row_mask:0xf bank_mask:0xf
	v_addc_co_u32_e32 v1, vcc, 0, v1, vcc
	v_add_co_u32_e32 v88, vcc, 0, v0
	v_addc_co_u32_e32 v1, vcc, v1, v89, vcc
	v_mov_b32_dpp v0, v0 row_bcast:15 row_mask:0xf bank_mask:0xf
	v_add_co_u32_e32 v0, vcc, v88, v0
	v_mov_b32_dpp v89, v1 row_bcast:15 row_mask:0xf bank_mask:0xf
	v_addc_co_u32_e32 v1, vcc, 0, v1, vcc
	v_add_co_u32_e32 v88, vcc, 0, v0
	v_addc_co_u32_e32 v1, vcc, v1, v89, vcc
	v_mov_b32_dpp v0, v0 row_bcast:31 row_mask:0xf bank_mask:0xf
	v_add_co_u32_e32 v0, vcc, v88, v0
	v_mov_b32_dpp v89, v1 row_bcast:31 row_mask:0xf bank_mask:0xf
	v_addc_co_u32_e32 v1, vcc, 0, v1, vcc
	v_lshlrev_b32_e32 v88, 2, v96
	v_add_u32_e32 v1, v89, v1
	v_or_b32_e32 v89, 0xfc, v88
	ds_bpermute_b32 v0, v89, v0
	ds_bpermute_b32 v1, v89, v1
	v_and_b32_e32 v88, 0x100, v88
	s_waitcnt lgkmcnt(1)
	ds_bpermute_b32 v0, v88, v0
	s_waitcnt lgkmcnt(1)
	ds_bpermute_b32 v1, v88, v1
	s_and_b64 exec, exec, s[4:5]
	s_cbranch_execz .LBB0_95
; %bb.92:
	s_andn2_b64 vcc, exec, s[50:51]
	s_cbranch_vccnz .LBB0_94
; %bb.93:
	s_lshl_b64 s[4:5], s[6:7], 2
	s_add_u32 s4, s52, s4
	s_addc_u32 s5, s53, s5
	s_lshl_b64 s[6:7], s[6:7], 3
	s_add_u32 s6, s46, s6
	s_waitcnt lgkmcnt(1)
	v_add_co_u32_e32 v88, vcc, v0, v56
	v_mov_b32_e32 v92, 0
	s_addc_u32 s7, s47, s7
	s_waitcnt lgkmcnt(0)
	v_addc_co_u32_e32 v89, vcc, v1, v57, vcc
	global_store_dwordx2 v92, v[88:89], s[6:7]
	v_mov_b32_e32 v88, 2
	s_waitcnt vmcnt(0)
	buffer_wbinvl1_vol
	global_atomic_swap v92, v88, s[4:5]
.LBB0_94:
	s_mov_b64 s[4:5], src_shared_base
	v_mov_b32_e32 v88, 0
	v_mov_b32_e32 v89, s5
	s_waitcnt lgkmcnt(0)
	flat_store_dwordx2 v[88:89], v[0:1]
	s_waitcnt vmcnt(0)
.LBB0_95:
	s_or_b64 exec, exec, s[56:57]
	s_mov_b64 s[4:5], src_shared_base
	s_waitcnt lgkmcnt(0)
	v_mov_b32_e32 v0, 0
	v_mov_b32_e32 v1, s5
	s_barrier
	flat_load_dwordx2 v[0:1], v[0:1] glc
	s_waitcnt vmcnt(0)
	s_waitcnt lgkmcnt(0)
	v_add_co_u32_e32 v148, vcc, v0, v90
	v_addc_co_u32_e32 v149, vcc, v1, v91, vcc
	v_add_co_u32_e32 v146, vcc, v0, v102
	v_addc_co_u32_e32 v147, vcc, v1, v103, vcc
	;; [unrolled: 2-line block ×30, first 2 shown]
	s_branch .LBB0_99
.LBB0_96:
	s_and_saveexec_b64 s[4:5], s[40:41]
	s_cbranch_execz .LBB0_98
; %bb.97:
	v_mov_b32_e32 v0, 0
	v_mov_b32_e32 v1, 2
	global_store_dwordx2 v0, v[56:57], s[44:45]
	global_store_dwordx2 v0, v[56:57], s[46:47]
	s_waitcnt vmcnt(0)
	buffer_wbinvl1_vol
	global_atomic_swap v0, v1, s[52:53]
.LBB0_98:
	s_or_b64 exec, exec, s[4:5]
	v_pk_mov_b32 v[146:147], v[102:103], v[102:103] op_sel:[0,1]
	v_pk_mov_b32 v[142:143], v[30:31], v[30:31] op_sel:[0,1]
	;; [unrolled: 1-line block ×30, first 2 shown]
.LBB0_99:
	s_add_u32 s4, s48, -1
	s_addc_u32 s5, s49, -1
	s_and_saveexec_b64 s[6:7], s[0:1]
	s_cbranch_execz .LBB0_104
; %bb.100:
	v_cmp_ne_u64_e32 vcc, v[148:149], v[146:147]
	s_and_saveexec_b64 s[0:1], vcc
	s_cbranch_execz .LBB0_102
; %bb.101:
	v_lshlrev_b64 v[2:3], 2, v[148:149]
	v_mov_b32_e32 v4, s43
	v_add_co_u32_e32 v2, vcc, s42, v2
	v_addc_co_u32_e32 v3, vcc, v4, v3, vcc
	global_store_dword v[2:3], v58, off
.LBB0_102:
	s_or_b64 exec, exec, s[0:1]
	v_cmp_eq_u64_e32 vcc, s[4:5], v[58:59]
	s_and_b64 exec, exec, vcc
	s_cbranch_execz .LBB0_104
; %bb.103:
	v_mov_b32_e32 v2, 0
	global_store_dwordx2 v2, v[146:147], s[54:55]
.LBB0_104:
	s_or_b64 exec, exec, s[6:7]
	s_and_saveexec_b64 s[0:1], s[2:3]
	s_cbranch_execz .LBB0_109
; %bb.105:
	v_cmp_ne_u64_e32 vcc, v[144:145], v[142:143]
	s_and_saveexec_b64 s[2:3], vcc
	s_cbranch_execz .LBB0_107
; %bb.106:
	v_lshlrev_b64 v[2:3], 2, v[144:145]
	v_mov_b32_e32 v4, s43
	v_add_co_u32_e32 v2, vcc, s42, v2
	v_addc_co_u32_e32 v3, vcc, v4, v3, vcc
	global_store_dword v[2:3], v60, off
.LBB0_107:
	s_or_b64 exec, exec, s[2:3]
	v_cmp_eq_u64_e32 vcc, s[4:5], v[60:61]
	s_and_b64 exec, exec, vcc
	s_cbranch_execz .LBB0_109
; %bb.108:
	v_mov_b32_e32 v2, 0
	global_store_dwordx2 v2, v[142:143], s[54:55]
.LBB0_109:
	s_or_b64 exec, exec, s[0:1]
	;; [unrolled: 22-line block ×14, first 2 shown]
	s_and_saveexec_b64 s[0:1], s[28:29]
	s_cbranch_execz .LBB0_174
; %bb.170:
	v_cmp_ne_u64_e32 vcc, v[88:89], v[0:1]
	s_and_saveexec_b64 s[0:1], vcc
	s_cbranch_execz .LBB0_172
; %bb.171:
	v_lshlrev_b64 v[2:3], 2, v[88:89]
	v_mov_b32_e32 v4, s43
	v_add_co_u32_e32 v2, vcc, s42, v2
	v_addc_co_u32_e32 v3, vcc, v4, v3, vcc
	global_store_dword v[2:3], v86, off
.LBB0_172:
	s_or_b64 exec, exec, s[0:1]
	v_cmp_eq_u64_e32 vcc, s[4:5], v[86:87]
	s_and_b64 exec, exec, vcc
	s_cbranch_execz .LBB0_174
; %bb.173:
	v_mov_b32_e32 v2, 0
	global_store_dwordx2 v2, v[0:1], s[54:55]
.LBB0_174:
	s_endpgm
	.section	.rodata,"a",@progbits
	.p2align	6, 0x0
	.amdhsa_kernel _ZN8rajaperf5basic16indexlist_customILm256ELm15EEEvPdPiPlS4_PjS4_l
		.amdhsa_group_segment_fixed_size 30720
		.amdhsa_private_segment_fixed_size 0
		.amdhsa_kernarg_size 312
		.amdhsa_user_sgpr_count 6
		.amdhsa_user_sgpr_private_segment_buffer 1
		.amdhsa_user_sgpr_dispatch_ptr 0
		.amdhsa_user_sgpr_queue_ptr 0
		.amdhsa_user_sgpr_kernarg_segment_ptr 1
		.amdhsa_user_sgpr_dispatch_id 0
		.amdhsa_user_sgpr_flat_scratch_init 0
		.amdhsa_user_sgpr_kernarg_preload_length 0
		.amdhsa_user_sgpr_kernarg_preload_offset 0
		.amdhsa_user_sgpr_private_segment_size 0
		.amdhsa_uses_dynamic_stack 0
		.amdhsa_system_sgpr_private_segment_wavefront_offset 0
		.amdhsa_system_sgpr_workgroup_id_x 1
		.amdhsa_system_sgpr_workgroup_id_y 0
		.amdhsa_system_sgpr_workgroup_id_z 0
		.amdhsa_system_sgpr_workgroup_info 0
		.amdhsa_system_vgpr_workitem_id 0
		.amdhsa_next_free_vgpr 150
		.amdhsa_next_free_sgpr 60
		.amdhsa_accum_offset 152
		.amdhsa_reserve_vcc 1
		.amdhsa_reserve_flat_scratch 0
		.amdhsa_float_round_mode_32 0
		.amdhsa_float_round_mode_16_64 0
		.amdhsa_float_denorm_mode_32 3
		.amdhsa_float_denorm_mode_16_64 3
		.amdhsa_dx10_clamp 1
		.amdhsa_ieee_mode 1
		.amdhsa_fp16_overflow 0
		.amdhsa_tg_split 0
		.amdhsa_exception_fp_ieee_invalid_op 0
		.amdhsa_exception_fp_denorm_src 0
		.amdhsa_exception_fp_ieee_div_zero 0
		.amdhsa_exception_fp_ieee_overflow 0
		.amdhsa_exception_fp_ieee_underflow 0
		.amdhsa_exception_fp_ieee_inexact 0
		.amdhsa_exception_int_div_zero 0
	.end_amdhsa_kernel
	.section	.text._ZN8rajaperf5basic16indexlist_customILm256ELm15EEEvPdPiPlS4_PjS4_l,"axG",@progbits,_ZN8rajaperf5basic16indexlist_customILm256ELm15EEEvPdPiPlS4_PjS4_l,comdat
.Lfunc_end0:
	.size	_ZN8rajaperf5basic16indexlist_customILm256ELm15EEEvPdPiPlS4_PjS4_l, .Lfunc_end0-_ZN8rajaperf5basic16indexlist_customILm256ELm15EEEvPdPiPlS4_PjS4_l
                                        ; -- End function
	.section	.AMDGPU.csdata,"",@progbits
; Kernel info:
; codeLenInByte = 5772
; NumSgprs: 64
; NumVgprs: 150
; NumAgprs: 0
; TotalNumVgprs: 150
; ScratchSize: 0
; MemoryBound: 0
; FloatMode: 240
; IeeeMode: 1
; LDSByteSize: 30720 bytes/workgroup (compile time only)
; SGPRBlocks: 7
; VGPRBlocks: 18
; NumSGPRsForWavesPerEU: 64
; NumVGPRsForWavesPerEU: 150
; AccumOffset: 152
; Occupancy: 2
; WaveLimiterHint : 0
; COMPUTE_PGM_RSRC2:SCRATCH_EN: 0
; COMPUTE_PGM_RSRC2:USER_SGPR: 6
; COMPUTE_PGM_RSRC2:TRAP_HANDLER: 0
; COMPUTE_PGM_RSRC2:TGID_X_EN: 1
; COMPUTE_PGM_RSRC2:TGID_Y_EN: 0
; COMPUTE_PGM_RSRC2:TGID_Z_EN: 0
; COMPUTE_PGM_RSRC2:TIDIG_COMP_CNT: 0
; COMPUTE_PGM_RSRC3_GFX90A:ACCUM_OFFSET: 37
; COMPUTE_PGM_RSRC3_GFX90A:TG_SPLIT: 0
	.text
	.p2alignl 6, 3212836864
	.fill 256, 4, 3212836864
	.type	__hip_cuid_f52ed54aa84e9f93,@object ; @__hip_cuid_f52ed54aa84e9f93
	.section	.bss,"aw",@nobits
	.globl	__hip_cuid_f52ed54aa84e9f93
__hip_cuid_f52ed54aa84e9f93:
	.byte	0                               ; 0x0
	.size	__hip_cuid_f52ed54aa84e9f93, 1

	.ident	"AMD clang version 19.0.0git (https://github.com/RadeonOpenCompute/llvm-project roc-6.4.0 25133 c7fe45cf4b819c5991fe208aaa96edf142730f1d)"
	.section	".note.GNU-stack","",@progbits
	.addrsig
	.addrsig_sym __hip_cuid_f52ed54aa84e9f93
	.amdgpu_metadata
---
amdhsa.kernels:
  - .agpr_count:     0
    .args:
      - .address_space:  global
        .offset:         0
        .size:           8
        .value_kind:     global_buffer
      - .address_space:  global
        .offset:         8
        .size:           8
        .value_kind:     global_buffer
      - .address_space:  global
        .offset:         16
        .size:           8
        .value_kind:     global_buffer
      - .address_space:  global
        .offset:         24
        .size:           8
        .value_kind:     global_buffer
      - .address_space:  global
        .offset:         32
        .size:           8
        .value_kind:     global_buffer
      - .address_space:  global
        .offset:         40
        .size:           8
        .value_kind:     global_buffer
      - .offset:         48
        .size:           8
        .value_kind:     by_value
      - .offset:         56
        .size:           4
        .value_kind:     hidden_block_count_x
      - .offset:         60
        .size:           4
        .value_kind:     hidden_block_count_y
      - .offset:         64
        .size:           4
        .value_kind:     hidden_block_count_z
      - .offset:         68
        .size:           2
        .value_kind:     hidden_group_size_x
      - .offset:         70
        .size:           2
        .value_kind:     hidden_group_size_y
      - .offset:         72
        .size:           2
        .value_kind:     hidden_group_size_z
      - .offset:         74
        .size:           2
        .value_kind:     hidden_remainder_x
      - .offset:         76
        .size:           2
        .value_kind:     hidden_remainder_y
      - .offset:         78
        .size:           2
        .value_kind:     hidden_remainder_z
      - .offset:         96
        .size:           8
        .value_kind:     hidden_global_offset_x
      - .offset:         104
        .size:           8
        .value_kind:     hidden_global_offset_y
      - .offset:         112
        .size:           8
        .value_kind:     hidden_global_offset_z
      - .offset:         120
        .size:           2
        .value_kind:     hidden_grid_dims
    .group_segment_fixed_size: 30720
    .kernarg_segment_align: 8
    .kernarg_segment_size: 312
    .language:       OpenCL C
    .language_version:
      - 2
      - 0
    .max_flat_workgroup_size: 256
    .name:           _ZN8rajaperf5basic16indexlist_customILm256ELm15EEEvPdPiPlS4_PjS4_l
    .private_segment_fixed_size: 0
    .sgpr_count:     64
    .sgpr_spill_count: 0
    .symbol:         _ZN8rajaperf5basic16indexlist_customILm256ELm15EEEvPdPiPlS4_PjS4_l.kd
    .uniform_work_group_size: 1
    .uses_dynamic_stack: false
    .vgpr_count:     150
    .vgpr_spill_count: 0
    .wavefront_size: 64
amdhsa.target:   amdgcn-amd-amdhsa--gfx90a
amdhsa.version:
  - 1
  - 2
...

	.end_amdgpu_metadata
